;; amdgpu-corpus repo=ROCm/rocFFT kind=compiled arch=gfx1201 opt=O3
	.text
	.amdgcn_target "amdgcn-amd-amdhsa--gfx1201"
	.amdhsa_code_object_version 6
	.protected	fft_rtc_back_len343_factors_7_7_7_wgs_245_tpt_49_half_op_CI_CI_sbcc_twdbase5_3step ; -- Begin function fft_rtc_back_len343_factors_7_7_7_wgs_245_tpt_49_half_op_CI_CI_sbcc_twdbase5_3step
	.globl	fft_rtc_back_len343_factors_7_7_7_wgs_245_tpt_49_half_op_CI_CI_sbcc_twdbase5_3step
	.p2align	8
	.type	fft_rtc_back_len343_factors_7_7_7_wgs_245_tpt_49_half_op_CI_CI_sbcc_twdbase5_3step,@function
fft_rtc_back_len343_factors_7_7_7_wgs_245_tpt_49_half_op_CI_CI_sbcc_twdbase5_3step: ; @fft_rtc_back_len343_factors_7_7_7_wgs_245_tpt_49_half_op_CI_CI_sbcc_twdbase5_3step
; %bb.0:
	s_clause 0x1
	s_load_b256 s[4:11], s[0:1], 0x8
	s_load_b64 s[26:27], s[0:1], 0x28
	s_mov_b32 s2, ttmp9
	s_mov_b32 s3, exec_lo
	v_cmpx_gt_u32_e32 0x60, v0
	s_cbranch_execz .LBB0_2
; %bb.1:
	v_lshlrev_b32_e32 v1, 2, v0
	s_wait_kmcnt 0x0
	global_load_b32 v2, v1, s[4:5]
	v_add_nc_u32_e32 v1, 0, v1
	s_wait_loadcnt 0x0
	ds_store_b32 v1, v2 offset:6860
.LBB0_2:
	s_or_b32 exec_lo, exec_lo, s3
	s_mov_b32 s3, 0
	s_wait_kmcnt 0x0
	s_mov_b32 s4, 0x3330c000
	s_movk_i32 s5, 0xb3
	s_mov_b32 s12, s3
	s_mov_b32 s13, s3
	s_load_b64 s[28:29], s[8:9], 0x8
	s_add_nc_u64 s[4:5], s[12:13], s[4:5]
	s_mov_b32 s17, s3
	s_add_co_i32 s5, s5, 0x33333280
	s_mov_b64 s[20:21], 0
	s_mul_u64 s[12:13], s[4:5], -5
	s_delay_alu instid0(SALU_CYCLE_1)
	s_mul_hi_u32 s15, s4, s13
	s_mul_i32 s14, s4, s13
	s_mul_hi_u32 s16, s4, s12
	s_mul_hi_u32 s18, s5, s12
	s_mul_i32 s12, s5, s12
	s_add_nc_u64 s[14:15], s[16:17], s[14:15]
	s_mul_hi_u32 s16, s5, s13
	s_add_co_u32 s12, s14, s12
	s_add_co_ci_u32 s12, s15, s18
	s_add_co_ci_u32 s15, s16, 0
	s_mul_i32 s14, s5, s13
	s_mov_b32 s13, s3
	s_delay_alu instid0(SALU_CYCLE_1) | instskip(SKIP_3) | instid1(VALU_DEP_1)
	s_add_nc_u64 s[12:13], s[12:13], s[14:15]
	s_wait_kmcnt 0x0
	s_add_nc_u64 s[14:15], s[28:29], -1
	v_add_co_u32 v1, s4, s4, s12
	s_cmp_lg_u32 s4, 0
	s_add_co_ci_u32 s17, s5, s13
	s_delay_alu instid0(VALU_DEP_1) | instskip(SKIP_3) | instid1(VALU_DEP_1)
	v_readfirstlane_b32 s16, v1
	s_mul_hi_u32 s5, s14, s17
	s_mul_i32 s4, s14, s17
	s_mov_b32 s13, s3
	s_mul_hi_u32 s12, s14, s16
	s_wait_alu 0xfffe
	s_add_nc_u64 s[4:5], s[12:13], s[4:5]
	s_mul_i32 s13, s15, s16
	s_mul_hi_u32 s16, s15, s16
	s_mul_hi_u32 s12, s15, s17
	s_wait_alu 0xfffe
	s_add_co_u32 s4, s4, s13
	s_add_co_ci_u32 s4, s5, s16
	s_add_co_ci_u32 s13, s12, 0
	s_mul_i32 s12, s15, s17
	s_mov_b32 s5, s3
	s_wait_alu 0xfffe
	s_add_nc_u64 s[4:5], s[4:5], s[12:13]
	s_wait_alu 0xfffe
	s_mul_u64 s[12:13], s[4:5], 5
	s_wait_alu 0xfffe
	v_sub_co_u32 v1, s12, s14, s12
	s_delay_alu instid0(VALU_DEP_1) | instskip(SKIP_1) | instid1(VALU_DEP_1)
	s_cmp_lg_u32 s12, 0
	s_sub_co_ci_u32 s16, s15, s13
	v_sub_co_u32 v2, s14, v1, 5
	s_delay_alu instid0(VALU_DEP_1) | instskip(SKIP_2) | instid1(VALU_DEP_2)
	s_cmp_lg_u32 s14, 0
	v_readfirstlane_b32 s18, v1
	s_sub_co_ci_u32 s14, s16, 0
	v_readfirstlane_b32 s12, v2
	s_delay_alu instid0(VALU_DEP_1)
	s_cmp_gt_u32 s12, 4
	s_add_nc_u64 s[12:13], s[4:5], 1
	s_cselect_b32 s17, -1, 0
	s_wait_alu 0xfffe
	s_cmp_eq_u32 s14, 0
	s_add_nc_u64 s[14:15], s[4:5], 2
	s_cselect_b32 s17, s17, -1
	s_delay_alu instid0(SALU_CYCLE_1)
	s_cmp_lg_u32 s17, 0
	s_wait_alu 0xfffe
	s_cselect_b32 s12, s14, s12
	s_cselect_b32 s13, s15, s13
	s_cmp_gt_u32 s18, 4
	s_cselect_b32 s14, -1, 0
	s_cmp_eq_u32 s16, 0
	s_wait_alu 0xfffe
	s_cselect_b32 s14, s14, -1
	s_wait_alu 0xfffe
	s_cmp_lg_u32 s14, 0
	s_cselect_b32 s5, s13, s5
	s_cselect_b32 s4, s12, s4
	s_wait_alu 0xfffe
	s_add_nc_u64 s[34:35], s[4:5], 1
	s_delay_alu instid0(SALU_CYCLE_1) | instskip(NEXT) | instid1(VALU_DEP_1)
	v_cmp_lt_u64_e64 s4, s[2:3], s[34:35]
	s_and_b32 vcc_lo, exec_lo, s4
	s_cbranch_vccnz .LBB0_4
; %bb.3:
	v_cvt_f32_u32_e32 v1, s34
	s_sub_co_i32 s5, 0, s34
	s_mov_b32 s21, s3
	s_delay_alu instid0(VALU_DEP_1) | instskip(NEXT) | instid1(TRANS32_DEP_1)
	v_rcp_iflag_f32_e32 v1, v1
	v_mul_f32_e32 v1, 0x4f7ffffe, v1
	s_delay_alu instid0(VALU_DEP_1) | instskip(NEXT) | instid1(VALU_DEP_1)
	v_cvt_u32_f32_e32 v1, v1
	v_readfirstlane_b32 s4, v1
	s_wait_alu 0xfffe
	s_delay_alu instid0(VALU_DEP_1)
	s_mul_i32 s5, s5, s4
	s_wait_alu 0xfffe
	s_mul_hi_u32 s5, s4, s5
	s_wait_alu 0xfffe
	s_add_co_i32 s4, s4, s5
	s_wait_alu 0xfffe
	s_mul_hi_u32 s4, s2, s4
	s_wait_alu 0xfffe
	s_mul_i32 s5, s4, s34
	s_add_co_i32 s12, s4, 1
	s_wait_alu 0xfffe
	s_sub_co_i32 s5, s2, s5
	s_wait_alu 0xfffe
	s_sub_co_i32 s13, s5, s34
	s_cmp_ge_u32 s5, s34
	s_cselect_b32 s4, s12, s4
	s_wait_alu 0xfffe
	s_cselect_b32 s5, s13, s5
	s_add_co_i32 s12, s4, 1
	s_wait_alu 0xfffe
	s_cmp_ge_u32 s5, s34
	s_cselect_b32 s20, s12, s4
.LBB0_4:
	s_load_b128 s[16:19], s[10:11], 0x0
	s_load_b128 s[12:15], s[26:27], 0x0
	s_load_b64 s[22:23], s[0:1], 0x0
	v_cmp_lt_u64_e64 s30, s[6:7], 3
	s_mul_u64 s[4:5], s[20:21], s[34:35]
	s_wait_alu 0xfffe
	s_sub_nc_u64 s[4:5], s[2:3], s[4:5]
	s_wait_alu 0xfffe
	s_mul_u64 s[24:25], s[4:5], 5
	s_and_b32 vcc_lo, exec_lo, s30
	s_wait_kmcnt 0x0
	s_mul_u64 s[30:31], s[18:19], s[24:25]
	s_mul_u64 s[4:5], s[14:15], s[24:25]
	s_cbranch_vccnz .LBB0_14
; %bb.5:
	s_add_nc_u64 s[36:37], s[26:27], 16
	s_add_nc_u64 s[38:39], s[10:11], 16
	s_add_nc_u64 s[8:9], s[8:9], 16
	s_mov_b64 s[40:41], 2
	s_mov_b32 s42, 0
.LBB0_6:                                ; =>This Inner Loop Header: Depth=1
	s_load_b64 s[44:45], s[8:9], 0x0
                                        ; implicit-def: $sgpr48_sgpr49
	s_wait_kmcnt 0x0
	s_or_b64 s[46:47], s[20:21], s[44:45]
	s_delay_alu instid0(SALU_CYCLE_1)
	s_mov_b32 s43, s47
	s_mov_b32 s47, -1
	s_cmp_lg_u64 s[42:43], 0
	s_cbranch_scc0 .LBB0_8
; %bb.7:                                ;   in Loop: Header=BB0_6 Depth=1
	s_cvt_f32_u32 s33, s44
	s_cvt_f32_u32 s43, s45
	s_sub_nc_u64 s[50:51], 0, s[44:45]
	s_mov_b32 s47, 0
	s_mov_b32 s55, s42
	s_wait_alu 0xfffe
	s_fmamk_f32 s33, s43, 0x4f800000, s33
	s_wait_alu 0xfffe
	s_delay_alu instid0(SALU_CYCLE_2) | instskip(NEXT) | instid1(TRANS32_DEP_1)
	v_s_rcp_f32 s33, s33
	s_mul_f32 s33, s33, 0x5f7ffffc
	s_wait_alu 0xfffe
	s_delay_alu instid0(SALU_CYCLE_2) | instskip(NEXT) | instid1(SALU_CYCLE_3)
	s_mul_f32 s43, s33, 0x2f800000
	s_trunc_f32 s43, s43
	s_delay_alu instid0(SALU_CYCLE_3) | instskip(SKIP_2) | instid1(SALU_CYCLE_1)
	s_fmamk_f32 s33, s43, 0xcf800000, s33
	s_cvt_u32_f32 s49, s43
	s_wait_alu 0xfffe
	s_cvt_u32_f32 s48, s33
	s_wait_alu 0xfffe
	s_delay_alu instid0(SALU_CYCLE_2)
	s_mul_u64 s[52:53], s[50:51], s[48:49]
	s_wait_alu 0xfffe
	s_mul_hi_u32 s57, s48, s53
	s_mul_i32 s56, s48, s53
	s_mul_hi_u32 s46, s48, s52
	s_mul_i32 s43, s49, s52
	s_add_nc_u64 s[56:57], s[46:47], s[56:57]
	s_mul_hi_u32 s33, s49, s52
	s_mul_hi_u32 s58, s49, s53
	s_add_co_u32 s43, s56, s43
	s_wait_alu 0xfffe
	s_add_co_ci_u32 s54, s57, s33
	s_mul_i32 s52, s49, s53
	s_add_co_ci_u32 s53, s58, 0
	s_wait_alu 0xfffe
	s_add_nc_u64 s[52:53], s[54:55], s[52:53]
	s_wait_alu 0xfffe
	v_add_co_u32 v1, s33, s48, s52
	s_delay_alu instid0(VALU_DEP_1) | instskip(SKIP_1) | instid1(VALU_DEP_1)
	s_cmp_lg_u32 s33, 0
	s_add_co_ci_u32 s49, s49, s53
	v_readfirstlane_b32 s48, v1
	s_mov_b32 s53, s42
	s_wait_alu 0xfffe
	s_delay_alu instid0(VALU_DEP_1)
	s_mul_u64 s[50:51], s[50:51], s[48:49]
	s_wait_alu 0xfffe
	s_mul_hi_u32 s55, s48, s51
	s_mul_i32 s54, s48, s51
	s_mul_hi_u32 s46, s48, s50
	s_mul_i32 s43, s49, s50
	s_add_nc_u64 s[54:55], s[46:47], s[54:55]
	s_mul_hi_u32 s33, s49, s50
	s_mul_hi_u32 s48, s49, s51
	s_add_co_u32 s43, s54, s43
	s_wait_alu 0xfffe
	s_add_co_ci_u32 s52, s55, s33
	s_mul_i32 s50, s49, s51
	s_add_co_ci_u32 s51, s48, 0
	s_wait_alu 0xfffe
	s_add_nc_u64 s[50:51], s[52:53], s[50:51]
	s_wait_alu 0xfffe
	v_add_co_u32 v1, s33, v1, s50
	s_delay_alu instid0(VALU_DEP_1) | instskip(SKIP_1) | instid1(VALU_DEP_1)
	s_cmp_lg_u32 s33, 0
	s_add_co_ci_u32 s33, s49, s51
	v_readfirstlane_b32 s43, v1
	s_wait_alu 0xfffe
	s_mul_hi_u32 s49, s20, s33
	s_mul_i32 s48, s20, s33
	s_mul_hi_u32 s51, s21, s33
	s_mul_i32 s50, s21, s33
	;; [unrolled: 2-line block ×3, first 2 shown]
	s_wait_alu 0xfffe
	s_add_nc_u64 s[48:49], s[46:47], s[48:49]
	s_mul_hi_u32 s43, s21, s43
	s_wait_alu 0xfffe
	s_add_co_u32 s33, s48, s33
	s_add_co_ci_u32 s52, s49, s43
	s_add_co_ci_u32 s51, s51, 0
	s_wait_alu 0xfffe
	s_add_nc_u64 s[48:49], s[52:53], s[50:51]
	s_wait_alu 0xfffe
	s_mul_u64 s[50:51], s[44:45], s[48:49]
	s_add_nc_u64 s[52:53], s[48:49], 1
	s_wait_alu 0xfffe
	v_sub_co_u32 v1, s33, s20, s50
	s_sub_co_i32 s43, s21, s51
	s_cmp_lg_u32 s33, 0
	s_add_nc_u64 s[54:55], s[48:49], 2
	s_delay_alu instid0(VALU_DEP_1) | instskip(SKIP_2) | instid1(VALU_DEP_1)
	v_sub_co_u32 v2, s46, v1, s44
	s_sub_co_ci_u32 s43, s43, s45
	s_cmp_lg_u32 s46, 0
	v_readfirstlane_b32 s46, v2
	s_sub_co_ci_u32 s43, s43, 0
	s_delay_alu instid0(SALU_CYCLE_1) | instskip(SKIP_1) | instid1(VALU_DEP_1)
	s_cmp_ge_u32 s43, s45
	s_cselect_b32 s50, -1, 0
	s_cmp_ge_u32 s46, s44
	s_cselect_b32 s46, -1, 0
	s_cmp_eq_u32 s43, s45
	s_wait_alu 0xfffe
	s_cselect_b32 s43, s46, s50
	s_delay_alu instid0(SALU_CYCLE_1)
	s_cmp_lg_u32 s43, 0
	s_cselect_b32 s43, s54, s52
	s_cselect_b32 s46, s55, s53
	s_cmp_lg_u32 s33, 0
	v_readfirstlane_b32 s33, v1
	s_sub_co_ci_u32 s50, s21, s51
	s_wait_alu 0xfffe
	s_cmp_ge_u32 s50, s45
	s_cselect_b32 s51, -1, 0
	s_cmp_ge_u32 s33, s44
	s_cselect_b32 s33, -1, 0
	s_cmp_eq_u32 s50, s45
	s_wait_alu 0xfffe
	s_cselect_b32 s33, s33, s51
	s_wait_alu 0xfffe
	s_cmp_lg_u32 s33, 0
	s_cselect_b32 s49, s46, s49
	s_cselect_b32 s48, s43, s48
.LBB0_8:                                ;   in Loop: Header=BB0_6 Depth=1
	s_and_not1_b32 vcc_lo, exec_lo, s47
	s_cbranch_vccnz .LBB0_10
; %bb.9:                                ;   in Loop: Header=BB0_6 Depth=1
	v_cvt_f32_u32_e32 v1, s44
	s_sub_co_i32 s43, 0, s44
	s_mov_b32 s49, s42
	s_delay_alu instid0(VALU_DEP_1) | instskip(NEXT) | instid1(TRANS32_DEP_1)
	v_rcp_iflag_f32_e32 v1, v1
	v_mul_f32_e32 v1, 0x4f7ffffe, v1
	s_delay_alu instid0(VALU_DEP_1) | instskip(NEXT) | instid1(VALU_DEP_1)
	v_cvt_u32_f32_e32 v1, v1
	v_readfirstlane_b32 s33, v1
	s_delay_alu instid0(VALU_DEP_1) | instskip(NEXT) | instid1(SALU_CYCLE_1)
	s_mul_i32 s43, s43, s33
	s_mul_hi_u32 s43, s33, s43
	s_delay_alu instid0(SALU_CYCLE_1)
	s_add_co_i32 s33, s33, s43
	s_wait_alu 0xfffe
	s_mul_hi_u32 s33, s20, s33
	s_wait_alu 0xfffe
	s_mul_i32 s43, s33, s44
	s_add_co_i32 s46, s33, 1
	s_sub_co_i32 s43, s20, s43
	s_delay_alu instid0(SALU_CYCLE_1)
	s_sub_co_i32 s47, s43, s44
	s_cmp_ge_u32 s43, s44
	s_cselect_b32 s33, s46, s33
	s_cselect_b32 s43, s47, s43
	s_wait_alu 0xfffe
	s_add_co_i32 s46, s33, 1
	s_cmp_ge_u32 s43, s44
	s_cselect_b32 s48, s46, s33
.LBB0_10:                               ;   in Loop: Header=BB0_6 Depth=1
	s_load_b64 s[46:47], s[38:39], 0x0
	s_load_b64 s[50:51], s[36:37], 0x0
	s_add_nc_u64 s[40:41], s[40:41], 1
	s_mul_u64 s[34:35], s[44:45], s[34:35]
	s_wait_alu 0xfffe
	v_cmp_ge_u64_e64 s33, s[40:41], s[6:7]
	s_mul_u64 s[44:45], s[48:49], s[44:45]
	s_add_nc_u64 s[36:37], s[36:37], 8
	s_wait_alu 0xfffe
	s_sub_nc_u64 s[20:21], s[20:21], s[44:45]
	s_add_nc_u64 s[38:39], s[38:39], 8
	s_add_nc_u64 s[8:9], s[8:9], 8
	s_and_b32 vcc_lo, exec_lo, s33
	s_wait_kmcnt 0x0
	s_wait_alu 0xfffe
	s_mul_u64 s[44:45], s[46:47], s[20:21]
	s_mul_u64 s[20:21], s[50:51], s[20:21]
	s_wait_alu 0xfffe
	s_add_nc_u64 s[30:31], s[44:45], s[30:31]
	s_add_nc_u64 s[4:5], s[20:21], s[4:5]
	s_cbranch_vccnz .LBB0_12
; %bb.11:                               ;   in Loop: Header=BB0_6 Depth=1
	s_mov_b64 s[20:21], s[48:49]
	s_branch .LBB0_6
.LBB0_12:
	v_cmp_lt_u64_e64 s3, s[2:3], s[34:35]
	s_mov_b64 s[20:21], 0
	s_delay_alu instid0(VALU_DEP_1)
	s_and_b32 vcc_lo, exec_lo, s3
	s_cbranch_vccnz .LBB0_14
; %bb.13:
	v_cvt_f32_u32_e32 v1, s34
	s_sub_co_i32 s8, 0, s34
	s_mov_b32 s21, 0
	s_delay_alu instid0(VALU_DEP_1) | instskip(NEXT) | instid1(TRANS32_DEP_1)
	v_rcp_iflag_f32_e32 v1, v1
	v_mul_f32_e32 v1, 0x4f7ffffe, v1
	s_delay_alu instid0(VALU_DEP_1) | instskip(NEXT) | instid1(VALU_DEP_1)
	v_cvt_u32_f32_e32 v1, v1
	v_readfirstlane_b32 s3, v1
	s_delay_alu instid0(VALU_DEP_1) | instskip(NEXT) | instid1(SALU_CYCLE_1)
	s_mul_i32 s8, s8, s3
	s_mul_hi_u32 s8, s3, s8
	s_delay_alu instid0(SALU_CYCLE_1) | instskip(SKIP_4) | instid1(SALU_CYCLE_1)
	s_add_co_i32 s3, s3, s8
	s_wait_alu 0xfffe
	s_mul_hi_u32 s3, s2, s3
	s_wait_alu 0xfffe
	s_mul_i32 s8, s3, s34
	s_sub_co_i32 s2, s2, s8
	s_add_co_i32 s8, s3, 1
	s_wait_alu 0xfffe
	s_sub_co_i32 s9, s2, s34
	s_cmp_ge_u32 s2, s34
	s_cselect_b32 s3, s8, s3
	s_cselect_b32 s2, s9, s2
	s_wait_alu 0xfffe
	s_add_co_i32 s8, s3, 1
	s_cmp_ge_u32 s2, s34
	s_cselect_b32 s20, s8, s3
.LBB0_14:
	v_mul_hi_u32 v9, 0x33333334, v0
	s_load_b128 s[0:3], s[0:1], 0x60
	s_lshl_b64 s[8:9], s[6:7], 3
	s_add_nc_u64 s[6:7], s[24:25], 5
	s_wait_alu 0xfffe
	v_cmp_le_u64_e64 s33, s[6:7], s[28:29]
	s_delay_alu instid0(VALU_DEP_2)
	v_mul_u32_u24_e32 v1, 5, v9
	v_add_nc_u32_e32 v11, 49, v9
	v_add_nc_u32_e32 v8, 0x62, v9
	;; [unrolled: 1-line block ×4, first 2 shown]
	v_sub_nc_u32_e32 v10, v0, v1
	v_dual_mov_b32 v1, 0 :: v_dual_lshlrev_b32 v12, 2, v9
	v_add_nc_u32_e32 v5, 0xf5, v9
	v_add_nc_u32_e32 v4, 0x126, v9
	s_delay_alu instid0(VALU_DEP_4) | instskip(SKIP_4) | instid1(VALU_DEP_2)
	v_add_co_u32 v2, s6, s24, v10
	s_wait_alu 0xf1ff
	v_add_co_ci_u32_e64 v3, null, s25, 0, s6
	v_mul_lo_u32 v13, 0x55c, v10
	s_add_nc_u64 s[6:7], s[26:27], s[8:9]
	v_cmp_gt_u64_e32 vcc_lo, s[28:29], v[2:3]
	s_or_b32 s26, s33, vcc_lo
	s_delay_alu instid0(SALU_CYCLE_1)
	s_and_saveexec_b32 s27, s26
	s_cbranch_execz .LBB0_16
; %bb.15:
	s_add_nc_u64 s[8:9], s[10:11], s[8:9]
	v_mad_co_u64_u32 v[2:3], null, s18, v10, 0
	s_load_b64 s[8:9], s[8:9], 0x0
	v_mad_co_u64_u32 v[14:15], null, s16, v9, 0
	v_mad_co_u64_u32 v[16:17], null, s16, v11, 0
	s_lshl_b64 s[10:11], s[30:31], 2
	s_delay_alu instid0(VALU_DEP_3) | instskip(SKIP_1) | instid1(VALU_DEP_3)
	v_mad_co_u64_u32 v[18:19], null, s19, v10, v[3:4]
	v_mad_co_u64_u32 v[19:20], null, s16, v8, 0
	;; [unrolled: 1-line block ×3, first 2 shown]
	s_delay_alu instid0(VALU_DEP_2) | instskip(NEXT) | instid1(VALU_DEP_2)
	v_dual_mov_b32 v3, v18 :: v_dual_mov_b32 v18, v20
	v_mov_b32_e32 v15, v21
	s_wait_kmcnt 0x0
	s_mul_u64 s[8:9], s[8:9], s[20:21]
	s_delay_alu instid0(VALU_DEP_2) | instskip(SKIP_3) | instid1(SALU_CYCLE_1)
	v_mad_co_u64_u32 v[20:21], null, s17, v11, v[17:18]
	s_lshl_b64 s[8:9], s[8:9], 2
	v_lshlrev_b64_e32 v[2:3], 2, v[2:3]
	s_add_nc_u64 s[0:1], s[0:1], s[8:9]
	s_add_nc_u64 s[0:1], s[0:1], s[10:11]
	s_delay_alu instid0(VALU_DEP_2) | instskip(NEXT) | instid1(VALU_DEP_2)
	v_mov_b32_e32 v17, v20
	v_add_co_u32 v29, vcc_lo, s0, v2
	v_mad_co_u64_u32 v[20:21], null, s17, v8, v[18:19]
	v_add_co_ci_u32_e32 v30, vcc_lo, s1, v3, vcc_lo
	v_mad_co_u64_u32 v[2:3], null, s16, v7, 0
	v_mad_co_u64_u32 v[21:22], null, s16, v6, 0
	s_delay_alu instid0(VALU_DEP_1) | instskip(NEXT) | instid1(VALU_DEP_3)
	v_mov_b32_e32 v18, v22
	v_mad_co_u64_u32 v[22:23], null, s17, v7, v[3:4]
	v_mad_co_u64_u32 v[23:24], null, s16, v5, 0
	v_lshlrev_b64_e32 v[14:15], 2, v[14:15]
	s_delay_alu instid0(VALU_DEP_4)
	v_mad_co_u64_u32 v[25:26], null, s17, v6, v[18:19]
	v_mad_co_u64_u32 v[26:27], null, s16, v4, 0
	v_lshlrev_b64_e32 v[19:20], 2, v[19:20]
	v_mov_b32_e32 v18, v24
	v_lshlrev_b64_e32 v[16:17], 2, v[16:17]
	v_add_co_u32 v14, vcc_lo, v29, v14
	s_wait_alu 0xfffd
	v_add_co_ci_u32_e32 v15, vcc_lo, v30, v15, vcc_lo
	v_dual_mov_b32 v3, v22 :: v_dual_mov_b32 v22, v25
	s_delay_alu instid0(VALU_DEP_4)
	v_add_co_u32 v16, vcc_lo, v29, v16
	s_wait_alu 0xfffd
	v_add_co_ci_u32_e32 v17, vcc_lo, v30, v17, vcc_lo
	v_mad_co_u64_u32 v[24:25], null, s17, v5, v[18:19]
	v_mov_b32_e32 v18, v27
	v_add_co_u32 v19, vcc_lo, v29, v19
	v_lshlrev_b64_e32 v[2:3], 2, v[2:3]
	v_lshlrev_b64_e32 v[21:22], 2, v[21:22]
	s_wait_alu 0xfffd
	v_add_co_ci_u32_e32 v20, vcc_lo, v30, v20, vcc_lo
	v_mad_co_u64_u32 v[27:28], null, s17, v4, v[18:19]
	s_delay_alu instid0(VALU_DEP_4)
	v_add_co_u32 v2, vcc_lo, v29, v2
	v_lshlrev_b64_e32 v[23:24], 2, v[23:24]
	s_wait_alu 0xfffd
	v_add_co_ci_u32_e32 v3, vcc_lo, v30, v3, vcc_lo
	v_add_co_u32 v21, vcc_lo, v29, v21
	v_lshlrev_b64_e32 v[25:26], 2, v[26:27]
	s_wait_alu 0xfffd
	v_add_co_ci_u32_e32 v22, vcc_lo, v30, v22, vcc_lo
	v_add_co_u32 v23, vcc_lo, v29, v23
	s_wait_alu 0xfffd
	v_add_co_ci_u32_e32 v24, vcc_lo, v30, v24, vcc_lo
	v_add_co_u32 v25, vcc_lo, v29, v25
	s_wait_alu 0xfffd
	v_add_co_ci_u32_e32 v26, vcc_lo, v30, v26, vcc_lo
	s_clause 0x6
	global_load_b32 v14, v[14:15], off
	global_load_b32 v15, v[16:17], off
	;; [unrolled: 1-line block ×7, first 2 shown]
	v_add3_u32 v19, 0, v13, v12
	s_wait_loadcnt 0x5
	ds_store_2addr_b32 v19, v14, v15 offset1:49
	s_wait_loadcnt 0x3
	ds_store_2addr_b32 v19, v16, v2 offset0:98 offset1:147
	s_wait_loadcnt 0x1
	ds_store_2addr_b32 v19, v3, v17 offset0:196 offset1:245
	s_wait_loadcnt 0x0
	ds_store_b32 v19, v18 offset:1176
.LBB0_16:
	s_or_b32 exec_lo, exec_lo, s27
	s_wait_kmcnt 0x0
	s_mov_b32 s0, 0
	s_mov_b32 s8, 0x3330c000
	s_movk_i32 s9, 0xb3
	s_wait_alu 0xfffe
	s_mov_b32 s1, s0
	s_mov_b32 s19, s0
	s_wait_alu 0xfffe
	s_add_nc_u64 s[8:9], s[0:1], s[8:9]
	v_mul_hi_u32 v16, 0x539782a, v0
	s_add_co_i32 s9, s9, 0x33333280
	s_delay_alu instid0(SALU_CYCLE_1) | instskip(NEXT) | instid1(SALU_CYCLE_1)
	s_mul_u64 s[10:11], s[8:9], -5
	s_mul_hi_u32 s17, s8, s11
	s_mul_i32 s16, s8, s11
	s_mul_hi_u32 s18, s8, s10
	s_mul_hi_u32 s1, s9, s10
	s_mul_i32 s10, s9, s10
	s_wait_alu 0xfffe
	s_add_nc_u64 s[16:17], s[18:19], s[16:17]
	s_mul_hi_u32 s18, s9, s11
	s_wait_alu 0xfffe
	s_add_co_u32 s10, s16, s10
	s_add_co_ci_u32 s10, s17, s1
	s_add_co_ci_u32 s17, s18, 0
	s_mul_i32 s16, s9, s11
	s_mov_b32 s11, s0
	s_wait_alu 0xfffe
	s_add_nc_u64 s[0:1], s[10:11], s[16:17]
	s_wait_alu 0xfffe
	v_add_co_u32 v14, s0, s8, s0
	s_delay_alu instid0(VALU_DEP_1) | instskip(SKIP_4) | instid1(VALU_DEP_2)
	s_cmp_lg_u32 s0, 0
	v_add_co_u32 v17, s0, s24, v16
	s_wait_alu 0xf1ff
	v_add_co_ci_u32_e64 v19, null, s25, 0, s0
	s_add_co_ci_u32 s0, s9, s1
	v_mul_hi_u32 v18, v17, v14
	s_wait_alu 0xfffe
	v_mad_co_u64_u32 v[2:3], null, v17, s0, 0
	v_mad_co_u64_u32 v[14:15], null, v19, v14, 0
	s_delay_alu instid0(VALU_DEP_2) | instskip(SKIP_1) | instid1(VALU_DEP_3)
	v_add_co_u32 v18, vcc_lo, v18, v2
	s_wait_alu 0xfffd
	v_add_co_ci_u32_e32 v20, vcc_lo, 0, v3, vcc_lo
	v_mad_co_u64_u32 v[2:3], null, v19, s0, 0
	s_delay_alu instid0(VALU_DEP_3) | instskip(SKIP_1) | instid1(VALU_DEP_3)
	v_add_co_u32 v14, vcc_lo, v18, v14
	s_wait_alu 0xfffd
	v_add_co_ci_u32_e32 v14, vcc_lo, v20, v15, vcc_lo
	s_load_b64 s[0:1], s[6:7], 0x0
	global_wb scope:SCOPE_SE
	s_wait_dscnt 0x0
	v_add_co_ci_u32_e32 v3, vcc_lo, 0, v3, vcc_lo
	v_add_co_u32 v2, vcc_lo, v14, v2
	s_wait_kmcnt 0x0
	s_barrier_signal -1
	s_wait_alu 0xfffd
	v_add_co_ci_u32_e32 v14, vcc_lo, 0, v3, vcc_lo
	v_mad_co_u64_u32 v[2:3], null, v2, 5, 0
	s_barrier_wait -1
	global_inv scope:SCOPE_SE
	s_add_co_i32 s6, 0, 0x1acc
	v_mad_co_u64_u32 v[14:15], null, v14, 5, v[3:4]
	v_mul_u32_u24_e32 v3, 49, v16
	v_sub_co_u32 v2, vcc_lo, v17, v2
	s_delay_alu instid0(VALU_DEP_2) | instskip(SKIP_1) | instid1(VALU_DEP_4)
	v_sub_nc_u32_e32 v18, v0, v3
	s_wait_alu 0xfffd
	v_sub_co_ci_u32_e32 v0, vcc_lo, v19, v14, vcc_lo
	s_delay_alu instid0(VALU_DEP_3) | instskip(SKIP_1) | instid1(VALU_DEP_2)
	v_sub_co_u32 v3, vcc_lo, v2, 5
	s_wait_alu 0xfffd
	v_subrev_co_ci_u32_e32 v15, vcc_lo, 0, v0, vcc_lo
	s_delay_alu instid0(VALU_DEP_2)
	v_cmp_lt_u32_e32 vcc_lo, 4, v3
	s_wait_alu 0xfffd
	v_cndmask_b32_e64 v16, 0, -1, vcc_lo
	v_cmp_lt_u32_e32 vcc_lo, 4, v2
	s_wait_alu 0xfffd
	v_cndmask_b32_e64 v19, 0, -1, vcc_lo
	v_cmp_eq_u32_e32 vcc_lo, 0, v15
	s_wait_alu 0xfffd
	v_dual_cndmask_b32 v15, -1, v16 :: v_dual_and_b32 v14, 0xff, v18
	v_cmp_eq_u32_e32 vcc_lo, 0, v0
	s_delay_alu instid0(VALU_DEP_2)
	v_mul_lo_u16 v14, v14, 37
	v_add_nc_u32_e32 v16, -5, v3
	s_wait_alu 0xfffd
	v_cndmask_b32_e32 v0, -1, v19, vcc_lo
	v_cmp_ne_u32_e32 vcc_lo, 0, v15
	v_lshrrev_b16 v14, 8, v14
	s_wait_alu 0xfffd
	v_cndmask_b32_e32 v3, v3, v16, vcc_lo
	v_cmp_ne_u32_e32 vcc_lo, 0, v0
	s_delay_alu instid0(VALU_DEP_3) | instskip(SKIP_3) | instid1(VALU_DEP_3)
	v_sub_nc_u16 v15, v18, v14
	v_lshlrev_b32_e32 v16, 2, v18
	s_wait_alu 0xfffd
	v_cndmask_b32_e32 v0, v2, v3, vcc_lo
	v_lshrrev_b16 v2, 1, v15
	s_delay_alu instid0(VALU_DEP_2) | instskip(NEXT) | instid1(VALU_DEP_2)
	v_mul_u32_u24_e32 v0, 0x157, v0
	v_and_b32_e32 v2, 0x7f, v2
	s_delay_alu instid0(VALU_DEP_2) | instskip(NEXT) | instid1(VALU_DEP_2)
	v_lshlrev_b32_e32 v31, 2, v0
	v_add_nc_u16 v0, v2, v14
	s_delay_alu instid0(VALU_DEP_2) | instskip(SKIP_1) | instid1(VALU_DEP_3)
	v_add3_u32 v14, 0, v16, v31
	v_add3_u32 v16, 0, v31, v16
	v_lshrrev_b16 v29, 2, v0
	s_delay_alu instid0(VALU_DEP_3)
	v_add_nc_u32_e32 v15, 0x200, v14
	ds_load_2addr_b32 v[2:3], v14 offset0:49 offset1:98
	ds_load_2addr_b32 v[19:20], v15 offset0:117 offset1:166
	;; [unrolled: 1-line block ×3, first 2 shown]
	ds_load_b32 v24, v16
	v_mul_lo_u16 v0, v29, 7
	v_mad_i32_i24 v23, v18, 24, v14
	global_wb scope:SCOPE_SE
	s_wait_dscnt 0x0
	s_barrier_signal -1
	s_barrier_wait -1
	v_sub_nc_u16 v0, v18, v0
	global_inv scope:SCOPE_SE
	v_and_b32_e32 v29, 0xffff, v29
	v_and_b32_e32 v30, 0xff, v0
	s_delay_alu instid0(VALU_DEP_2) | instskip(NEXT) | instid1(VALU_DEP_2)
	v_mad_u32_u24 v33, 0xc4, v29, 0
	v_mul_u32_u24_e32 v0, 6, v30
	v_lshlrev_b32_e32 v34, 2, v30
	v_pk_add_f16 v25, v2, v20
	v_pk_add_f16 v26, v3, v19
	;; [unrolled: 1-line block ×3, first 2 shown]
	v_pk_add_f16 v21, v22, v21 neg_lo:[0,1] neg_hi:[0,1]
	v_pk_add_f16 v3, v3, v19 neg_lo:[0,1] neg_hi:[0,1]
	;; [unrolled: 1-line block ×3, first 2 shown]
	v_pk_add_f16 v19, v26, v25
	v_pk_add_f16 v20, v26, v25 neg_lo:[0,1] neg_hi:[0,1]
	v_pk_add_f16 v22, v25, v27 neg_lo:[0,1] neg_hi:[0,1]
	v_pk_add_f16 v25, v21, v3
	v_pk_add_f16 v28, v2, v21 neg_lo:[0,1] neg_hi:[0,1]
	v_pk_add_f16 v32, v3, v2 neg_lo:[0,1] neg_hi:[0,1]
	;; [unrolled: 3-line block ×3, first 2 shown]
	v_pk_mul_f16 v21, 0x3a52, v22 op_sel_hi:[0,1]
	v_pk_mul_f16 v20, 0x39e0, v20 op_sel_hi:[0,1]
	;; [unrolled: 1-line block ×3, first 2 shown]
	v_pk_add_f16 v2, v25, v2
	v_pk_add_f16 v24, v24, v19
	v_pk_mul_f16 v25, 0xb574, v28 op_sel_hi:[0,1]
	v_pk_add_f16 v27, v21, v20 op_sel:[1,1] op_sel_hi:[0,0] neg_lo:[1,1] neg_hi:[1,1]
	v_pk_fma_f16 v28, 0xb574, v28, v22 op_sel_hi:[0,1,1] neg_lo:[0,1,1] neg_hi:[0,1,1]
	v_pk_fma_f16 v20, 0x2b26, v26, v20 op_sel_hi:[0,1,1] neg_lo:[0,1,0] neg_hi:[0,1,0]
	v_pk_fma_f16 v19, 0xbcab, v19, v24 op_sel_hi:[0,1,1]
	v_pk_fma_f16 v22, 0x3846, v3, v22 op_sel_hi:[0,1,1] neg_lo:[0,1,0] neg_hi:[0,1,0]
	v_pk_fma_f16 v21, 0x2b26, v26, v21 op_sel_hi:[0,1,1]
	v_pk_fma_f16 v3, 0x3846, v3, v25 op_sel_hi:[0,1,1]
	;; [unrolled: 1-line block ×3, first 2 shown]
	v_pk_add_f16 v26, v27, v19 op_sel:[0,1] op_sel_hi:[1,0]
	v_pk_fma_f16 v22, 0xb70e, v2, v22 op_sel_hi:[0,1,1]
	v_pk_add_f16 v20, v20, v19
	v_pk_fma_f16 v2, 0xb70e, v2, v3 op_sel_hi:[0,1,1]
	v_pk_add_f16 v3, v21, v19
	v_pk_add_f16 v19, v26, v25
	v_pk_add_f16 v21, v26, v25 neg_lo:[0,1] neg_hi:[0,1]
	v_pk_add_f16 v25, v20, v22 op_sel:[0,1] op_sel_hi:[1,0] neg_lo:[0,1] neg_hi:[0,1]
	v_pk_add_f16 v20, v20, v22 op_sel:[0,1] op_sel_hi:[1,0]
	v_pk_add_f16 v22, v3, v2 op_sel:[0,1] op_sel_hi:[1,0]
	v_pk_add_f16 v2, v3, v2 op_sel:[0,1] op_sel_hi:[1,0] neg_lo:[0,1] neg_hi:[0,1]
	v_lshlrev_b32_e32 v0, 2, v0
	v_alignbit_b32 v3, v21, v19, 16
	v_bfi_b32 v26, 0xffff, v25, v20
	v_bfi_b32 v20, 0xffff, v20, v25
	;; [unrolled: 1-line block ×3, first 2 shown]
	v_alignbit_b32 v19, v19, v21, 16
	v_bfi_b32 v2, 0xffff, v2, v22
	ds_store_2addr_b32 v23, v24, v27 offset1:1
	ds_store_2addr_b32 v23, v3, v26 offset0:2 offset1:3
	ds_store_2addr_b32 v23, v20, v19 offset0:4 offset1:5
	ds_store_b32 v23, v2 offset:24
	global_wb scope:SCOPE_SE
	s_wait_dscnt 0x0
	s_barrier_signal -1
	s_barrier_wait -1
	global_inv scope:SCOPE_SE
	s_clause 0x1
	global_load_b128 v[19:22], v0, s[22:23]
	global_load_b64 v[2:3], v0, s[22:23] offset:16
	ds_load_2addr_b32 v[23:24], v14 offset0:49 offset1:98
	ds_load_2addr_b32 v[25:26], v14 offset0:147 offset1:196
	;; [unrolled: 1-line block ×3, first 2 shown]
	v_mul_i32_i24_e32 v0, 6, v18
	ds_load_b32 v32, v16
	global_wb scope:SCOPE_SE
	s_wait_loadcnt_dscnt 0x0
	s_barrier_signal -1
	s_barrier_wait -1
	v_lshlrev_b64_e32 v[0:1], 2, v[0:1]
	global_inv scope:SCOPE_SE
	v_mul_lo_u32 v18, v18, v17
	v_mul_lo_u32 v17, v17, 49
	v_add_co_u32 v29, vcc_lo, s22, v0
	s_wait_alu 0xfffd
	v_add_co_ci_u32_e32 v30, vcc_lo, s23, v1, vcc_lo
	v_add3_u32 v0, v33, v34, v31
	v_lshrrev_b32_e32 v1, 16, v23
	v_lshrrev_b32_e32 v31, 16, v24
	;; [unrolled: 1-line block ×13, first 2 shown]
	v_mul_f16_e32 v44, v38, v1
	v_mul_f16_e32 v38, v38, v23
	;; [unrolled: 1-line block ×12, first 2 shown]
	v_fmac_f16_e32 v44, v19, v23
	v_fma_f16 v1, v19, v1, -v38
	v_fmac_f16_e32 v45, v20, v24
	v_fma_f16 v19, v20, v31, -v39
	;; [unrolled: 2-line block ×6, first 2 shown]
	v_add_f16_e32 v22, v44, v49
	v_add_f16_e32 v23, v1, v3
	v_sub_f16_e32 v1, v1, v3
	v_add_f16_e32 v3, v45, v48
	v_add_f16_e32 v25, v19, v2
	v_sub_f16_e32 v24, v44, v49
	v_sub_f16_e32 v26, v45, v48
	;; [unrolled: 1-line block ×3, first 2 shown]
	v_add_f16_e32 v19, v46, v47
	v_add_f16_e32 v27, v20, v21
	v_sub_f16_e32 v28, v47, v46
	v_sub_f16_e32 v20, v21, v20
	v_add_f16_e32 v21, v3, v22
	v_add_f16_e32 v31, v25, v23
	v_sub_f16_e32 v33, v3, v22
	v_sub_f16_e32 v34, v25, v23
	;; [unrolled: 1-line block ×6, first 2 shown]
	v_add_f16_e32 v35, v28, v26
	v_add_f16_e32 v36, v20, v2
	v_sub_f16_e32 v38, v28, v26
	v_sub_f16_e32 v39, v20, v2
	;; [unrolled: 1-line block ×3, first 2 shown]
	v_add_f16_e32 v19, v19, v21
	v_add_f16_e32 v21, v27, v31
	v_sub_f16_e32 v2, v2, v1
	v_sub_f16_e32 v28, v24, v28
	;; [unrolled: 1-line block ×3, first 2 shown]
	v_add_f16_e32 v24, v35, v24
	v_add_f16_e32 v1, v36, v1
	v_mul_f16_e32 v22, 0x3a52, v22
	v_mul_f16_e32 v23, 0x3a52, v23
	v_mul_f16_e32 v27, 0x2b26, v3
	v_mul_f16_e32 v31, 0x2b26, v25
	v_mul_f16_e32 v35, 0x3846, v38
	v_mul_f16_e32 v36, 0x3846, v39
	v_mul_f16_e32 v38, 0xbb00, v26
	v_add_f16_e32 v32, v19, v32
	v_add_f16_e32 v37, v21, v37
	v_mul_f16_e32 v39, 0xbb00, v2
	v_fmamk_f16 v3, v3, 0x2b26, v22
	v_fmamk_f16 v25, v25, 0x2b26, v23
	v_fma_f16 v27, v33, 0x39e0, -v27
	v_fma_f16 v31, v34, 0x39e0, -v31
	;; [unrolled: 1-line block ×4, first 2 shown]
	v_fmamk_f16 v33, v28, 0xb574, v35
	v_fmamk_f16 v34, v20, 0xb574, v36
	v_fma_f16 v26, v26, 0xbb00, -v35
	v_fma_f16 v28, v28, 0x3574, -v38
	v_fmamk_f16 v19, v19, 0xbcab, v32
	v_fmamk_f16 v21, v21, 0xbcab, v37
	v_fma_f16 v2, v2, 0xbb00, -v36
	v_fma_f16 v20, v20, 0x3574, -v39
	v_fmac_f16_e32 v33, 0xb70e, v24
	v_fmac_f16_e32 v34, 0xb70e, v1
	;; [unrolled: 1-line block ×4, first 2 shown]
	v_add_f16_e32 v3, v3, v19
	v_add_f16_e32 v24, v25, v21
	v_fmac_f16_e32 v2, 0xb70e, v1
	v_fmac_f16_e32 v20, 0xb70e, v1
	v_add_f16_e32 v25, v27, v19
	v_add_f16_e32 v19, v22, v19
	v_add_f16_e32 v22, v23, v21
	v_add_f16_e32 v21, v31, v21
	v_add_f16_e32 v23, v34, v3
	v_sub_f16_e32 v27, v24, v33
	v_pack_b32_f16 v1, v32, v37
	v_add_f16_e32 v31, v20, v19
	v_sub_f16_e32 v32, v22, v28
	v_sub_f16_e32 v35, v25, v2
	v_add_f16_e32 v36, v26, v21
	v_add_f16_e32 v2, v2, v25
	v_sub_f16_e32 v21, v21, v26
	v_sub_f16_e32 v19, v19, v20
	v_add_f16_e32 v20, v28, v22
	v_sub_f16_e32 v3, v3, v34
	v_add_f16_e32 v22, v33, v24
	v_pack_b32_f16 v23, v23, v27
	v_pack_b32_f16 v24, v31, v32
	v_pack_b32_f16 v25, v35, v36
	v_pack_b32_f16 v2, v2, v21
	v_pack_b32_f16 v19, v19, v20
	v_pack_b32_f16 v3, v3, v22
	ds_store_2addr_b32 v0, v1, v23 offset1:7
	ds_store_2addr_b32 v0, v24, v25 offset0:14 offset1:21
	ds_store_2addr_b32 v0, v2, v19 offset0:28 offset1:35
	ds_store_b32 v0, v3 offset:168
	global_wb scope:SCOPE_SE
	s_wait_dscnt 0x0
	s_barrier_signal -1
	s_barrier_wait -1
	global_inv scope:SCOPE_SE
	s_clause 0x1
	global_load_b128 v[0:3], v[29:30], off offset:168
	global_load_b64 v[19:20], v[29:30], off offset:184
	v_and_b32_e32 v21, 31, v18
	v_lshrrev_b32_e32 v22, 3, v18
	v_lshrrev_b32_e32 v23, 8, v18
	v_add_nc_u32_e32 v18, v18, v17
	s_delay_alu instid0(VALU_DEP_4) | instskip(NEXT) | instid1(VALU_DEP_4)
	v_lshl_add_u32 v25, v21, 2, 0
	v_and_b32_e32 v21, 0x7c, v22
	s_delay_alu instid0(VALU_DEP_4) | instskip(NEXT) | instid1(VALU_DEP_4)
	v_and_b32_e32 v22, 0x7c, v23
	v_and_b32_e32 v23, 31, v18
	v_lshrrev_b32_e32 v24, 3, v18
	v_lshrrev_b32_e32 v26, 8, v18
	v_add_nc_u32_e32 v18, v18, v17
	s_wait_alu 0xfffe
	v_add_nc_u32_e32 v27, s6, v21
	v_add_nc_u32_e32 v28, s6, v22
	v_lshl_add_u32 v29, v23, 2, 0
	v_and_b32_e32 v21, 0x7c, v24
	v_and_b32_e32 v22, 0x7c, v26
	v_and_b32_e32 v23, 31, v18
	v_lshrrev_b32_e32 v24, 3, v18
	v_lshrrev_b32_e32 v26, 8, v18
	v_add_nc_u32_e32 v18, v18, v17
	v_add_nc_u32_e32 v30, s6, v21
	v_add_nc_u32_e32 v31, s6, v22
	v_lshl_add_u32 v32, v23, 2, 0
	v_and_b32_e32 v21, 0x7c, v24
	v_and_b32_e32 v22, 0x7c, v26
	v_and_b32_e32 v23, 31, v18
	v_lshrrev_b32_e32 v24, 3, v18
	v_lshrrev_b32_e32 v26, 8, v18
	v_add_nc_u32_e32 v18, v18, v17
	;; [unrolled: 9-line block ×3, first 2 shown]
	v_add_nc_u32_e32 v36, s6, v21
	v_add_nc_u32_e32 v37, s6, v22
	v_and_b32_e32 v21, 0x7c, v24
	v_and_b32_e32 v22, 0x7c, v26
	v_add_nc_u32_e32 v17, v18, v17
	v_lshl_add_u32 v38, v23, 2, 0
	v_and_b32_e32 v23, 31, v18
	v_lshrrev_b32_e32 v24, 3, v18
	v_lshrrev_b32_e32 v18, 8, v18
	v_add_nc_u32_e32 v26, s6, v21
	v_lshrrev_b32_e32 v21, 3, v17
	v_add_nc_u32_e32 v39, s6, v22
	v_lshrrev_b32_e32 v22, 8, v17
	v_lshl_add_u32 v40, v23, 2, 0
	v_and_b32_e32 v23, 0x7c, v24
	v_and_b32_e32 v18, 0x7c, v18
	;; [unrolled: 1-line block ×5, first 2 shown]
	v_add_nc_u32_e32 v41, s6, v23
	v_add_nc_u32_e32 v18, s6, v18
	v_lshl_add_u32 v42, v17, 2, 0
	v_add_nc_u32_e32 v43, s6, v21
	v_add_nc_u32_e32 v44, s6, v22
	ds_load_b32 v45, v16
	ds_load_2addr_b32 v[16:17], v14 offset0:49 offset1:98
	ds_load_2addr_b32 v[21:22], v14 offset0:147 offset1:196
	;; [unrolled: 1-line block ×3, first 2 shown]
	ds_load_b32 v15, v25 offset:6860
	ds_load_b32 v25, v27 offset:128
	;; [unrolled: 1-line block ×21, first 2 shown]
	s_wait_dscnt 0x14
	v_lshrrev_b32_e32 v52, 16, v15
	s_wait_dscnt 0x13
	v_lshrrev_b32_e32 v53, 16, v25
	;; [unrolled: 2-line block ×4, first 2 shown]
	v_lshrrev_b32_e32 v54, 16, v27
	s_wait_dscnt 0xe
	v_lshrrev_b32_e32 v58, 16, v31
	s_wait_dscnt 0xd
	v_lshrrev_b32_e32 v59, 16, v32
	v_mul_f16_e32 v73, v52, v53
	s_wait_dscnt 0xb
	v_lshrrev_b32_e32 v61, 16, v34
	s_wait_dscnt 0xa
	v_lshrrev_b32_e32 v62, 16, v35
	v_mul_f16_e32 v53, v15, v53
	;; [unrolled: 5-line block ×5, first 2 shown]
	v_mul_f16_e32 v59, v31, v59
	v_mul_f16_e32 v76, v61, v62
	;; [unrolled: 1-line block ×5, first 2 shown]
	v_lshrrev_b32_e32 v57, 16, v30
	v_lshrrev_b32_e32 v60, 16, v33
	;; [unrolled: 1-line block ×4, first 2 shown]
	v_mul_f16_e32 v78, v67, v68
	v_mul_f16_e32 v68, v39, v68
	;; [unrolled: 1-line block ×4, first 2 shown]
	v_fma_f16 v15, v15, v25, -v73
	v_fmac_f16_e32 v53, v52, v25
	v_fma_f16 v25, v28, v29, -v74
	v_fmac_f16_e32 v56, v55, v29
	v_fmac_f16_e32 v59, v58, v32
	v_fma_f16 v29, v34, v35, -v76
	v_fmac_f16_e32 v62, v61, v35
	v_fmac_f16_e32 v65, v64, v26
	v_lshrrev_b32_e32 v69, 16, v18
	s_wait_dscnt 0x0
	v_lshrrev_b32_e32 v72, 16, v43
	v_fma_f16 v28, v31, v32, -v75
	v_fma_f16 v31, v37, v26, -v77
	v_fma_f16 v26, v39, v40, -v78
	v_fmac_f16_e32 v68, v67, v40
	v_fma_f16 v32, v41, v42, -v79
	v_fmac_f16_e32 v71, v70, v42
	v_mul_f16_e32 v34, v53, v54
	v_mul_f16_e32 v35, v15, v54
	;; [unrolled: 1-line block ×8, first 2 shown]
	v_lshrrev_b32_e32 v44, 16, v16
	v_lshrrev_b32_e32 v46, 16, v17
	;; [unrolled: 1-line block ×4, first 2 shown]
	v_mul_f16_e32 v41, v28, v60
	v_mul_f16_e32 v55, v31, v66
	;; [unrolled: 1-line block ×6, first 2 shown]
	v_fma_f16 v15, v27, v15, -v34
	v_fmac_f16_e32 v35, v27, v53
	v_fma_f16 v25, v30, v25, -v37
	v_fmac_f16_e32 v39, v30, v56
	v_fma_f16 v27, v33, v28, -v40
	v_fma_f16 v28, v36, v29, -v42
	v_fmac_f16_e32 v52, v36, v62
	v_fma_f16 v29, v38, v31, -v54
	v_lshrrev_b32_e32 v47, 16, v21
	v_lshrrev_b32_e32 v48, 16, v22
	v_fmac_f16_e32 v41, v33, v59
	v_fmac_f16_e32 v55, v38, v65
	v_fma_f16 v26, v18, v26, -v57
	v_fmac_f16_e32 v58, v18, v68
	v_fma_f16 v18, v43, v32, -v60
	v_fmac_f16_e32 v61, v43, v71
	v_lshrrev_b32_e32 v51, 16, v45
	global_wb scope:SCOPE_SE
	s_wait_loadcnt 0x0
	s_barrier_signal -1
	s_barrier_wait -1
	global_inv scope:SCOPE_SE
	v_lshrrev_b32_e32 v30, 16, v0
	v_lshrrev_b32_e32 v31, 16, v1
	;; [unrolled: 1-line block ×6, first 2 shown]
	v_mul_f16_e32 v37, v30, v44
	v_mul_f16_e32 v30, v30, v16
	;; [unrolled: 1-line block ×12, first 2 shown]
	v_fmac_f16_e32 v37, v0, v16
	v_fma_f16 v0, v0, v44, -v30
	v_fmac_f16_e32 v38, v1, v17
	v_fma_f16 v1, v1, v46, -v31
	;; [unrolled: 2-line block ×6, first 2 shown]
	v_add_f16_e32 v19, v37, v53
	v_add_f16_e32 v20, v0, v16
	v_sub_f16_e32 v0, v0, v16
	v_add_f16_e32 v16, v38, v43
	v_add_f16_e32 v22, v1, v17
	v_sub_f16_e32 v21, v37, v53
	v_sub_f16_e32 v23, v38, v43
	;; [unrolled: 1-line block ×3, first 2 shown]
	v_add_f16_e32 v17, v40, v42
	v_add_f16_e32 v24, v2, v3
	v_sub_f16_e32 v30, v42, v40
	v_sub_f16_e32 v2, v3, v2
	v_add_f16_e32 v3, v16, v19
	v_add_f16_e32 v31, v22, v20
	v_sub_f16_e32 v32, v16, v19
	v_sub_f16_e32 v33, v22, v20
	;; [unrolled: 1-line block ×6, first 2 shown]
	v_add_f16_e32 v34, v30, v23
	v_add_f16_e32 v36, v2, v1
	v_sub_f16_e32 v37, v30, v23
	v_sub_f16_e32 v38, v2, v1
	;; [unrolled: 1-line block ×4, first 2 shown]
	v_add_f16_e32 v3, v17, v3
	v_add_f16_e32 v17, v24, v31
	v_sub_f16_e32 v30, v21, v30
	v_sub_f16_e32 v2, v0, v2
	v_add_f16_e32 v21, v34, v21
	v_add_f16_e32 v0, v36, v0
	v_mul_f16_e32 v19, 0x3a52, v19
	v_mul_f16_e32 v20, 0x3a52, v20
	;; [unrolled: 1-line block ×8, first 2 shown]
	v_add_f16_e32 v40, v3, v45
	v_add_f16_e32 v42, v17, v51
	v_fmamk_f16 v16, v16, 0x2b26, v19
	v_fmamk_f16 v22, v22, 0x2b26, v20
	v_fma_f16 v24, v32, 0x39e0, -v24
	v_fma_f16 v31, v33, 0x39e0, -v31
	;; [unrolled: 1-line block ×4, first 2 shown]
	v_fmamk_f16 v32, v30, 0xb574, v34
	v_fmamk_f16 v33, v2, 0xb574, v36
	v_fma_f16 v23, v23, 0xbb00, -v34
	v_fma_f16 v1, v1, 0xbb00, -v36
	;; [unrolled: 1-line block ×4, first 2 shown]
	v_fmamk_f16 v3, v3, 0xbcab, v40
	v_fmamk_f16 v17, v17, 0xbcab, v42
	v_fmac_f16_e32 v32, 0xb70e, v21
	v_fmac_f16_e32 v33, 0xb70e, v0
	v_fmac_f16_e32 v23, 0xb70e, v21
	v_fmac_f16_e32 v1, 0xb70e, v0
	v_fmac_f16_e32 v30, 0xb70e, v21
	v_fmac_f16_e32 v2, 0xb70e, v0
	v_mul_f16_e32 v0, v42, v35
	v_mul_f16_e32 v21, v40, v35
	v_add_f16_e32 v16, v16, v3
	v_add_f16_e32 v22, v22, v17
	;; [unrolled: 1-line block ×6, first 2 shown]
	v_fmac_f16_e32 v0, v40, v15
	v_fma_f16 v15, v42, v15, -v21
	v_add_f16_e32 v19, v33, v16
	v_sub_f16_e32 v20, v22, v32
	v_add_f16_e32 v21, v2, v3
	v_sub_f16_e32 v34, v17, v30
	v_sub_f16_e32 v35, v24, v1
	v_add_f16_e32 v36, v23, v31
	v_add_f16_e32 v1, v1, v24
	v_sub_f16_e32 v23, v31, v23
	v_sub_f16_e32 v2, v3, v2
	v_add_f16_e32 v3, v30, v17
	v_sub_f16_e32 v16, v16, v33
	v_add_f16_e32 v17, v32, v22
	v_pack_b32_f16 v0, v0, v15
	v_mul_f16_e32 v15, v20, v39
	v_mul_f16_e32 v22, v19, v39
	;; [unrolled: 1-line block ×12, first 2 shown]
	v_fmac_f16_e32 v15, v19, v25
	v_fma_f16 v19, v20, v25, -v22
	v_fmac_f16_e32 v24, v21, v27
	v_fma_f16 v20, v34, v27, -v30
	;; [unrolled: 2-line block ×6, first 2 shown]
	v_pack_b32_f16 v15, v15, v19
	v_pack_b32_f16 v16, v24, v20
	;; [unrolled: 1-line block ×6, first 2 shown]
	ds_store_2addr_b32 v14, v0, v15 offset1:49
	ds_store_2addr_b32 v14, v16, v17 offset0:98 offset1:147
	ds_store_2addr_b32 v14, v1, v2 offset0:196 offset1:245
	ds_store_b32 v14, v3 offset:1176
	global_wb scope:SCOPE_SE
	s_wait_dscnt 0x0
	s_barrier_signal -1
	s_barrier_wait -1
	global_inv scope:SCOPE_SE
	s_and_saveexec_b32 s6, s26
	s_cbranch_execz .LBB0_18
; %bb.17:
	v_mad_co_u64_u32 v[0:1], null, s14, v10, 0
	v_mad_co_u64_u32 v[2:3], null, s12, v9, 0
	;; [unrolled: 1-line block ×3, first 2 shown]
	v_add3_u32 v20, 0, v13, v12
	s_mul_u64 s[0:1], s[0:1], s[20:21]
	s_lshl_b64 s[4:5], s[4:5], 2
	s_wait_alu 0xfffe
	s_lshl_b64 s[0:1], s[0:1], 2
	s_delay_alu instid0(VALU_DEP_3)
	v_mad_co_u64_u32 v[16:17], null, s15, v10, v[1:2]
	v_mad_co_u64_u32 v[9:10], null, s13, v9, v[3:4]
	v_mov_b32_e32 v3, v15
	ds_load_2addr_b32 v[12:13], v20 offset1:49
	s_wait_alu 0xfffe
	s_add_nc_u64 s[0:1], s[2:3], s[0:1]
	v_mad_co_u64_u32 v[18:19], null, s12, v5, 0
	v_mov_b32_e32 v1, v16
	v_mad_co_u64_u32 v[10:11], null, s13, v11, v[3:4]
	v_mov_b32_e32 v3, v9
	s_wait_alu 0xfffe
	s_add_nc_u64 s[0:1], s[0:1], s[4:5]
	v_lshlrev_b64_e32 v[0:1], 2, v[0:1]
	v_mad_co_u64_u32 v[16:17], null, s12, v8, 0
	v_lshlrev_b64_e32 v[2:3], 2, v[2:3]
	v_mov_b32_e32 v15, v10
	s_wait_alu 0xfffe
	s_delay_alu instid0(VALU_DEP_4) | instskip(SKIP_3) | instid1(VALU_DEP_3)
	v_add_co_u32 v21, vcc_lo, s0, v0
	s_wait_alu 0xfffd
	v_add_co_ci_u32_e32 v22, vcc_lo, s1, v1, vcc_lo
	v_lshlrev_b64_e32 v[10:11], 2, v[14:15]
	v_add_co_u32 v0, vcc_lo, v21, v2
	s_wait_alu 0xfffd
	s_delay_alu instid0(VALU_DEP_3)
	v_add_co_ci_u32_e32 v1, vcc_lo, v22, v3, vcc_lo
	v_mad_co_u64_u32 v[2:3], null, s12, v7, 0
	v_mov_b32_e32 v9, v17
	s_wait_dscnt 0x0
	global_store_b32 v[0:1], v12, off
	v_mad_co_u64_u32 v[0:1], null, s13, v8, v[9:10]
	v_mad_co_u64_u32 v[8:9], null, s12, v6, 0
	v_mov_b32_e32 v1, v3
	v_add_co_u32 v10, vcc_lo, v21, v10
	s_wait_alu 0xfffd
	v_add_co_ci_u32_e32 v11, vcc_lo, v22, v11, vcc_lo
	s_delay_alu instid0(VALU_DEP_3)
	v_mad_co_u64_u32 v[14:15], null, s13, v7, v[1:2]
	v_mov_b32_e32 v1, v9
	v_mov_b32_e32 v17, v0
	global_store_b32 v[10:11], v13, off
	v_mad_co_u64_u32 v[12:13], null, s12, v4, 0
	v_mad_co_u64_u32 v[0:1], null, s13, v6, v[1:2]
	v_mov_b32_e32 v3, v14
	v_mov_b32_e32 v1, v19
	v_lshlrev_b64_e32 v[10:11], 2, v[16:17]
	ds_load_2addr_b32 v[6:7], v20 offset0:98 offset1:147
	ds_load_2addr_b32 v[14:15], v20 offset0:196 offset1:245
	ds_load_b32 v16, v20 offset:1176
	v_mov_b32_e32 v9, v0
	v_mad_co_u64_u32 v[0:1], null, s13, v5, v[1:2]
	v_lshlrev_b64_e32 v[2:3], 2, v[2:3]
	v_mov_b32_e32 v1, v13
	v_add_co_u32 v10, vcc_lo, v21, v10
	v_lshlrev_b64_e32 v[8:9], 2, v[8:9]
	s_wait_alu 0xfffd
	v_add_co_ci_u32_e32 v11, vcc_lo, v22, v11, vcc_lo
	v_mad_co_u64_u32 v[4:5], null, s13, v4, v[1:2]
	v_mov_b32_e32 v19, v0
	v_add_co_u32 v0, vcc_lo, v21, v2
	s_wait_alu 0xfffd
	v_add_co_ci_u32_e32 v1, vcc_lo, v22, v3, vcc_lo
	s_delay_alu instid0(VALU_DEP_3) | instskip(SKIP_4) | instid1(VALU_DEP_3)
	v_lshlrev_b64_e32 v[2:3], 2, v[18:19]
	v_mov_b32_e32 v13, v4
	v_add_co_u32 v4, vcc_lo, v21, v8
	s_wait_alu 0xfffd
	v_add_co_ci_u32_e32 v5, vcc_lo, v22, v9, vcc_lo
	v_lshlrev_b64_e32 v[8:9], 2, v[12:13]
	v_add_co_u32 v2, vcc_lo, v21, v2
	s_wait_alu 0xfffd
	v_add_co_ci_u32_e32 v3, vcc_lo, v22, v3, vcc_lo
	s_delay_alu instid0(VALU_DEP_3)
	v_add_co_u32 v8, vcc_lo, v21, v8
	s_wait_alu 0xfffd
	v_add_co_ci_u32_e32 v9, vcc_lo, v22, v9, vcc_lo
	s_wait_dscnt 0x2
	s_clause 0x1
	global_store_b32 v[10:11], v6, off
	global_store_b32 v[0:1], v7, off
	s_wait_dscnt 0x1
	s_clause 0x1
	global_store_b32 v[4:5], v14, off
	global_store_b32 v[2:3], v15, off
	s_wait_dscnt 0x0
	global_store_b32 v[8:9], v16, off
.LBB0_18:
	s_nop 0
	s_sendmsg sendmsg(MSG_DEALLOC_VGPRS)
	s_endpgm
	.section	.rodata,"a",@progbits
	.p2align	6, 0x0
	.amdhsa_kernel fft_rtc_back_len343_factors_7_7_7_wgs_245_tpt_49_half_op_CI_CI_sbcc_twdbase5_3step
		.amdhsa_group_segment_fixed_size 0
		.amdhsa_private_segment_fixed_size 0
		.amdhsa_kernarg_size 112
		.amdhsa_user_sgpr_count 2
		.amdhsa_user_sgpr_dispatch_ptr 0
		.amdhsa_user_sgpr_queue_ptr 0
		.amdhsa_user_sgpr_kernarg_segment_ptr 1
		.amdhsa_user_sgpr_dispatch_id 0
		.amdhsa_user_sgpr_private_segment_size 0
		.amdhsa_wavefront_size32 1
		.amdhsa_uses_dynamic_stack 0
		.amdhsa_enable_private_segment 0
		.amdhsa_system_sgpr_workgroup_id_x 1
		.amdhsa_system_sgpr_workgroup_id_y 0
		.amdhsa_system_sgpr_workgroup_id_z 0
		.amdhsa_system_sgpr_workgroup_info 0
		.amdhsa_system_vgpr_workitem_id 0
		.amdhsa_next_free_vgpr 80
		.amdhsa_next_free_sgpr 59
		.amdhsa_reserve_vcc 1
		.amdhsa_float_round_mode_32 0
		.amdhsa_float_round_mode_16_64 0
		.amdhsa_float_denorm_mode_32 3
		.amdhsa_float_denorm_mode_16_64 3
		.amdhsa_fp16_overflow 0
		.amdhsa_workgroup_processor_mode 1
		.amdhsa_memory_ordered 1
		.amdhsa_forward_progress 0
		.amdhsa_round_robin_scheduling 0
		.amdhsa_exception_fp_ieee_invalid_op 0
		.amdhsa_exception_fp_denorm_src 0
		.amdhsa_exception_fp_ieee_div_zero 0
		.amdhsa_exception_fp_ieee_overflow 0
		.amdhsa_exception_fp_ieee_underflow 0
		.amdhsa_exception_fp_ieee_inexact 0
		.amdhsa_exception_int_div_zero 0
	.end_amdhsa_kernel
	.text
.Lfunc_end0:
	.size	fft_rtc_back_len343_factors_7_7_7_wgs_245_tpt_49_half_op_CI_CI_sbcc_twdbase5_3step, .Lfunc_end0-fft_rtc_back_len343_factors_7_7_7_wgs_245_tpt_49_half_op_CI_CI_sbcc_twdbase5_3step
                                        ; -- End function
	.section	.AMDGPU.csdata,"",@progbits
; Kernel info:
; codeLenInByte = 7012
; NumSgprs: 61
; NumVgprs: 80
; ScratchSize: 0
; MemoryBound: 0
; FloatMode: 240
; IeeeMode: 1
; LDSByteSize: 0 bytes/workgroup (compile time only)
; SGPRBlocks: 7
; VGPRBlocks: 9
; NumSGPRsForWavesPerEU: 61
; NumVGPRsForWavesPerEU: 80
; Occupancy: 16
; WaveLimiterHint : 1
; COMPUTE_PGM_RSRC2:SCRATCH_EN: 0
; COMPUTE_PGM_RSRC2:USER_SGPR: 2
; COMPUTE_PGM_RSRC2:TRAP_HANDLER: 0
; COMPUTE_PGM_RSRC2:TGID_X_EN: 1
; COMPUTE_PGM_RSRC2:TGID_Y_EN: 0
; COMPUTE_PGM_RSRC2:TGID_Z_EN: 0
; COMPUTE_PGM_RSRC2:TIDIG_COMP_CNT: 0
	.text
	.p2alignl 7, 3214868480
	.fill 96, 4, 3214868480
	.type	__hip_cuid_cb5235180e96345d,@object ; @__hip_cuid_cb5235180e96345d
	.section	.bss,"aw",@nobits
	.globl	__hip_cuid_cb5235180e96345d
__hip_cuid_cb5235180e96345d:
	.byte	0                               ; 0x0
	.size	__hip_cuid_cb5235180e96345d, 1

	.ident	"AMD clang version 19.0.0git (https://github.com/RadeonOpenCompute/llvm-project roc-6.4.0 25133 c7fe45cf4b819c5991fe208aaa96edf142730f1d)"
	.section	".note.GNU-stack","",@progbits
	.addrsig
	.addrsig_sym __hip_cuid_cb5235180e96345d
	.amdgpu_metadata
---
amdhsa.kernels:
  - .args:
      - .actual_access:  read_only
        .address_space:  global
        .offset:         0
        .size:           8
        .value_kind:     global_buffer
      - .address_space:  global
        .offset:         8
        .size:           8
        .value_kind:     global_buffer
      - .offset:         16
        .size:           8
        .value_kind:     by_value
      - .actual_access:  read_only
        .address_space:  global
        .offset:         24
        .size:           8
        .value_kind:     global_buffer
      - .actual_access:  read_only
        .address_space:  global
        .offset:         32
        .size:           8
        .value_kind:     global_buffer
      - .actual_access:  read_only
        .address_space:  global
        .offset:         40
        .size:           8
        .value_kind:     global_buffer
      - .offset:         48
        .size:           8
        .value_kind:     by_value
      - .actual_access:  read_only
        .address_space:  global
        .offset:         56
        .size:           8
        .value_kind:     global_buffer
      - .actual_access:  read_only
        .address_space:  global
        .offset:         64
        .size:           8
        .value_kind:     global_buffer
      - .offset:         72
        .size:           4
        .value_kind:     by_value
      - .actual_access:  read_only
        .address_space:  global
        .offset:         80
        .size:           8
        .value_kind:     global_buffer
      - .actual_access:  read_only
        .address_space:  global
        .offset:         88
        .size:           8
        .value_kind:     global_buffer
      - .actual_access:  read_only
        .address_space:  global
        .offset:         96
        .size:           8
        .value_kind:     global_buffer
      - .actual_access:  write_only
        .address_space:  global
        .offset:         104
        .size:           8
        .value_kind:     global_buffer
    .group_segment_fixed_size: 0
    .kernarg_segment_align: 8
    .kernarg_segment_size: 112
    .language:       OpenCL C
    .language_version:
      - 2
      - 0
    .max_flat_workgroup_size: 245
    .name:           fft_rtc_back_len343_factors_7_7_7_wgs_245_tpt_49_half_op_CI_CI_sbcc_twdbase5_3step
    .private_segment_fixed_size: 0
    .sgpr_count:     61
    .sgpr_spill_count: 0
    .symbol:         fft_rtc_back_len343_factors_7_7_7_wgs_245_tpt_49_half_op_CI_CI_sbcc_twdbase5_3step.kd
    .uniform_work_group_size: 1
    .uses_dynamic_stack: false
    .vgpr_count:     80
    .vgpr_spill_count: 0
    .wavefront_size: 32
    .workgroup_processor_mode: 1
amdhsa.target:   amdgcn-amd-amdhsa--gfx1201
amdhsa.version:
  - 1
  - 2
...

	.end_amdgpu_metadata
